;; amdgpu-corpus repo=ROCm/rocFFT kind=compiled arch=gfx906 opt=O3
	.text
	.amdgcn_target "amdgcn-amd-amdhsa--gfx906"
	.amdhsa_code_object_version 6
	.protected	fft_rtc_back_len78_factors_6_13_wgs_247_tpt_13_sp_op_CI_CI_unitstride_sbrr_C2R_dirReg ; -- Begin function fft_rtc_back_len78_factors_6_13_wgs_247_tpt_13_sp_op_CI_CI_unitstride_sbrr_C2R_dirReg
	.globl	fft_rtc_back_len78_factors_6_13_wgs_247_tpt_13_sp_op_CI_CI_unitstride_sbrr_C2R_dirReg
	.p2align	8
	.type	fft_rtc_back_len78_factors_6_13_wgs_247_tpt_13_sp_op_CI_CI_unitstride_sbrr_C2R_dirReg,@function
fft_rtc_back_len78_factors_6_13_wgs_247_tpt_13_sp_op_CI_CI_unitstride_sbrr_C2R_dirReg: ; @fft_rtc_back_len78_factors_6_13_wgs_247_tpt_13_sp_op_CI_CI_unitstride_sbrr_C2R_dirReg
; %bb.0:
	s_load_dwordx4 s[8:11], s[4:5], 0x58
	s_load_dwordx4 s[12:15], s[4:5], 0x0
	;; [unrolled: 1-line block ×3, first 2 shown]
	v_mul_u32_u24_e32 v1, 0x13b2, v0
	v_lshrrev_b32_e32 v1, 16, v1
	v_mad_u64_u32 v[3:4], s[0:1], s6, 19, v[1:2]
	v_mov_b32_e32 v5, 0
	v_mov_b32_e32 v1, 0
	;; [unrolled: 1-line block ×3, first 2 shown]
	s_waitcnt lgkmcnt(0)
	v_cmp_lt_u64_e64 s[0:1], s[14:15], 2
	v_mov_b32_e32 v2, 0
	v_mov_b32_e32 v17, v2
	;; [unrolled: 1-line block ×3, first 2 shown]
	s_and_b64 vcc, exec, s[0:1]
	v_mov_b32_e32 v16, v1
	v_mov_b32_e32 v18, v3
	s_cbranch_vccnz .LBB0_8
; %bb.1:
	s_load_dwordx2 s[0:1], s[4:5], 0x10
	s_add_u32 s2, s18, 8
	s_addc_u32 s3, s19, 0
	s_add_u32 s6, s16, 8
	v_mov_b32_e32 v1, 0
	s_addc_u32 s7, s17, 0
	v_mov_b32_e32 v2, 0
	s_waitcnt lgkmcnt(0)
	s_add_u32 s20, s0, 8
	v_mov_b32_e32 v17, v2
	v_mov_b32_e32 v8, v4
	s_addc_u32 s21, s1, 0
	s_mov_b64 s[22:23], 1
	v_mov_b32_e32 v16, v1
	v_mov_b32_e32 v7, v3
.LBB0_2:                                ; =>This Inner Loop Header: Depth=1
	s_load_dwordx2 s[24:25], s[20:21], 0x0
                                        ; implicit-def: $vgpr18_vgpr19
	s_waitcnt lgkmcnt(0)
	v_or_b32_e32 v6, s25, v8
	v_cmp_ne_u64_e32 vcc, 0, v[5:6]
	s_and_saveexec_b64 s[0:1], vcc
	s_xor_b64 s[26:27], exec, s[0:1]
	s_cbranch_execz .LBB0_4
; %bb.3:                                ;   in Loop: Header=BB0_2 Depth=1
	v_cvt_f32_u32_e32 v4, s24
	v_cvt_f32_u32_e32 v6, s25
	s_sub_u32 s0, 0, s24
	s_subb_u32 s1, 0, s25
	v_mac_f32_e32 v4, 0x4f800000, v6
	v_rcp_f32_e32 v4, v4
	v_mul_f32_e32 v4, 0x5f7ffffc, v4
	v_mul_f32_e32 v6, 0x2f800000, v4
	v_trunc_f32_e32 v6, v6
	v_mac_f32_e32 v4, 0xcf800000, v6
	v_cvt_u32_f32_e32 v6, v6
	v_cvt_u32_f32_e32 v4, v4
	v_mul_lo_u32 v9, s0, v6
	v_mul_hi_u32 v10, s0, v4
	v_mul_lo_u32 v12, s1, v4
	v_mul_lo_u32 v11, s0, v4
	v_add_u32_e32 v9, v10, v9
	v_add_u32_e32 v9, v9, v12
	v_mul_hi_u32 v10, v4, v11
	v_mul_lo_u32 v12, v4, v9
	v_mul_hi_u32 v14, v4, v9
	v_mul_hi_u32 v13, v6, v11
	v_mul_lo_u32 v11, v6, v11
	v_mul_hi_u32 v15, v6, v9
	v_add_co_u32_e32 v10, vcc, v10, v12
	v_addc_co_u32_e32 v12, vcc, 0, v14, vcc
	v_mul_lo_u32 v9, v6, v9
	v_add_co_u32_e32 v10, vcc, v10, v11
	v_addc_co_u32_e32 v10, vcc, v12, v13, vcc
	v_addc_co_u32_e32 v11, vcc, 0, v15, vcc
	v_add_co_u32_e32 v9, vcc, v10, v9
	v_addc_co_u32_e32 v10, vcc, 0, v11, vcc
	v_add_co_u32_e32 v4, vcc, v4, v9
	v_addc_co_u32_e32 v6, vcc, v6, v10, vcc
	v_mul_lo_u32 v9, s0, v6
	v_mul_hi_u32 v10, s0, v4
	v_mul_lo_u32 v11, s1, v4
	v_mul_lo_u32 v12, s0, v4
	v_add_u32_e32 v9, v10, v9
	v_add_u32_e32 v9, v9, v11
	v_mul_lo_u32 v13, v4, v9
	v_mul_hi_u32 v14, v4, v12
	v_mul_hi_u32 v15, v4, v9
	;; [unrolled: 1-line block ×3, first 2 shown]
	v_mul_lo_u32 v12, v6, v12
	v_mul_hi_u32 v10, v6, v9
	v_add_co_u32_e32 v13, vcc, v14, v13
	v_addc_co_u32_e32 v14, vcc, 0, v15, vcc
	v_mul_lo_u32 v9, v6, v9
	v_add_co_u32_e32 v12, vcc, v13, v12
	v_addc_co_u32_e32 v11, vcc, v14, v11, vcc
	v_addc_co_u32_e32 v10, vcc, 0, v10, vcc
	v_add_co_u32_e32 v9, vcc, v11, v9
	v_addc_co_u32_e32 v10, vcc, 0, v10, vcc
	v_add_co_u32_e32 v4, vcc, v4, v9
	v_addc_co_u32_e32 v6, vcc, v6, v10, vcc
	v_mad_u64_u32 v[9:10], s[0:1], v7, v6, 0
	v_mul_hi_u32 v11, v7, v4
	v_add_co_u32_e32 v13, vcc, v11, v9
	v_addc_co_u32_e32 v14, vcc, 0, v10, vcc
	v_mad_u64_u32 v[9:10], s[0:1], v8, v4, 0
	v_mad_u64_u32 v[11:12], s[0:1], v8, v6, 0
	v_add_co_u32_e32 v4, vcc, v13, v9
	v_addc_co_u32_e32 v4, vcc, v14, v10, vcc
	v_addc_co_u32_e32 v6, vcc, 0, v12, vcc
	v_add_co_u32_e32 v4, vcc, v4, v11
	v_addc_co_u32_e32 v6, vcc, 0, v6, vcc
	v_mul_lo_u32 v11, s25, v4
	v_mul_lo_u32 v12, s24, v6
	v_mad_u64_u32 v[9:10], s[0:1], s24, v4, 0
	v_add3_u32 v10, v10, v12, v11
	v_sub_u32_e32 v11, v8, v10
	v_mov_b32_e32 v12, s25
	v_sub_co_u32_e32 v9, vcc, v7, v9
	v_subb_co_u32_e64 v11, s[0:1], v11, v12, vcc
	v_subrev_co_u32_e64 v12, s[0:1], s24, v9
	v_subbrev_co_u32_e64 v11, s[0:1], 0, v11, s[0:1]
	v_cmp_le_u32_e64 s[0:1], s25, v11
	v_cndmask_b32_e64 v13, 0, -1, s[0:1]
	v_cmp_le_u32_e64 s[0:1], s24, v12
	v_cndmask_b32_e64 v12, 0, -1, s[0:1]
	v_cmp_eq_u32_e64 s[0:1], s25, v11
	v_cndmask_b32_e64 v11, v13, v12, s[0:1]
	v_add_co_u32_e64 v12, s[0:1], 2, v4
	v_addc_co_u32_e64 v13, s[0:1], 0, v6, s[0:1]
	v_add_co_u32_e64 v14, s[0:1], 1, v4
	v_addc_co_u32_e64 v15, s[0:1], 0, v6, s[0:1]
	v_subb_co_u32_e32 v10, vcc, v8, v10, vcc
	v_cmp_ne_u32_e64 s[0:1], 0, v11
	v_cmp_le_u32_e32 vcc, s25, v10
	v_cndmask_b32_e64 v11, v15, v13, s[0:1]
	v_cndmask_b32_e64 v13, 0, -1, vcc
	v_cmp_le_u32_e32 vcc, s24, v9
	v_cndmask_b32_e64 v9, 0, -1, vcc
	v_cmp_eq_u32_e32 vcc, s25, v10
	v_cndmask_b32_e32 v9, v13, v9, vcc
	v_cmp_ne_u32_e32 vcc, 0, v9
	v_cndmask_b32_e32 v19, v6, v11, vcc
	v_cndmask_b32_e64 v6, v14, v12, s[0:1]
	v_cndmask_b32_e32 v18, v4, v6, vcc
.LBB0_4:                                ;   in Loop: Header=BB0_2 Depth=1
	s_andn2_saveexec_b64 s[0:1], s[26:27]
	s_cbranch_execz .LBB0_6
; %bb.5:                                ;   in Loop: Header=BB0_2 Depth=1
	v_cvt_f32_u32_e32 v4, s24
	s_sub_i32 s26, 0, s24
	v_mov_b32_e32 v19, v5
	v_rcp_iflag_f32_e32 v4, v4
	v_mul_f32_e32 v4, 0x4f7ffffe, v4
	v_cvt_u32_f32_e32 v4, v4
	v_mul_lo_u32 v6, s26, v4
	v_mul_hi_u32 v6, v4, v6
	v_add_u32_e32 v4, v4, v6
	v_mul_hi_u32 v4, v7, v4
	v_mul_lo_u32 v6, v4, s24
	v_add_u32_e32 v9, 1, v4
	v_sub_u32_e32 v6, v7, v6
	v_subrev_u32_e32 v10, s24, v6
	v_cmp_le_u32_e32 vcc, s24, v6
	v_cndmask_b32_e32 v6, v6, v10, vcc
	v_cndmask_b32_e32 v4, v4, v9, vcc
	v_add_u32_e32 v9, 1, v4
	v_cmp_le_u32_e32 vcc, s24, v6
	v_cndmask_b32_e32 v18, v4, v9, vcc
.LBB0_6:                                ;   in Loop: Header=BB0_2 Depth=1
	s_or_b64 exec, exec, s[0:1]
	v_mul_lo_u32 v4, v19, s24
	v_mul_lo_u32 v6, v18, s25
	v_mad_u64_u32 v[9:10], s[0:1], v18, s24, 0
	s_load_dwordx2 s[0:1], s[6:7], 0x0
	s_load_dwordx2 s[24:25], s[2:3], 0x0
	v_add3_u32 v4, v10, v6, v4
	v_sub_co_u32_e32 v6, vcc, v7, v9
	v_subb_co_u32_e32 v4, vcc, v8, v4, vcc
	s_waitcnt lgkmcnt(0)
	v_mul_lo_u32 v7, s0, v4
	v_mul_lo_u32 v8, s1, v6
	v_mad_u64_u32 v[1:2], s[0:1], s0, v6, v[1:2]
	s_add_u32 s22, s22, 1
	s_addc_u32 s23, s23, 0
	s_add_u32 s2, s2, 8
	v_mul_lo_u32 v4, s24, v4
	v_mul_lo_u32 v9, s25, v6
	v_mad_u64_u32 v[16:17], s[0:1], s24, v6, v[16:17]
	v_add3_u32 v2, v8, v2, v7
	s_addc_u32 s3, s3, 0
	v_mov_b32_e32 v6, s14
	s_add_u32 s6, s6, 8
	v_mov_b32_e32 v7, s15
	s_addc_u32 s7, s7, 0
	v_cmp_ge_u64_e32 vcc, s[22:23], v[6:7]
	s_add_u32 s20, s20, 8
	v_add3_u32 v17, v9, v17, v4
	s_addc_u32 s21, s21, 0
	s_cbranch_vccnz .LBB0_8
; %bb.7:                                ;   in Loop: Header=BB0_2 Depth=1
	v_mov_b32_e32 v7, v18
	v_mov_b32_e32 v8, v19
	s_branch .LBB0_2
.LBB0_8:
	s_mov_b32 s0, 0xaf286bcb
	v_mul_hi_u32 v4, v3, s0
	s_load_dwordx2 s[0:1], s[4:5], 0x28
	s_lshl_b64 s[6:7], s[14:15], 3
	s_add_u32 s2, s18, s6
	v_sub_u32_e32 v5, v3, v4
	v_lshrrev_b32_e32 v5, 1, v5
	v_add_u32_e32 v4, v5, v4
	v_lshrrev_b32_e32 v4, 4, v4
	v_mul_lo_u32 v4, v4, 19
	s_waitcnt lgkmcnt(0)
	v_cmp_gt_u64_e32 vcc, s[0:1], v[18:19]
	v_cmp_le_u64_e64 s[0:1], s[0:1], v[18:19]
	s_addc_u32 s3, s19, s7
	v_sub_u32_e32 v3, v3, v4
                                        ; implicit-def: $vgpr20
	s_and_saveexec_b64 s[4:5], s[0:1]
	s_xor_b64 s[0:1], exec, s[4:5]
; %bb.9:
	s_mov_b32 s4, 0x13b13b14
	v_mul_hi_u32 v1, v0, s4
	v_mul_u32_u24_e32 v1, 13, v1
	v_sub_u32_e32 v20, v0, v1
                                        ; implicit-def: $vgpr0
                                        ; implicit-def: $vgpr1_vgpr2
; %bb.10:
	s_or_saveexec_b64 s[4:5], s[0:1]
	s_load_dwordx2 s[2:3], s[2:3], 0x0
	v_mul_u32_u24_e32 v3, 0x4f, v3
	v_lshlrev_b32_e32 v4, 3, v3
	s_xor_b64 exec, exec, s[4:5]
	s_cbranch_execz .LBB0_14
; %bb.11:
	s_add_u32 s0, s16, s6
	s_addc_u32 s1, s17, s7
	s_load_dwordx2 s[0:1], s[0:1], 0x0
	s_mov_b32 s6, 0x13b13b14
	v_mul_hi_u32 v7, v0, s6
	s_waitcnt lgkmcnt(0)
	v_mul_lo_u32 v8, s1, v18
	v_mul_lo_u32 v9, s0, v19
	v_mad_u64_u32 v[5:6], s[0:1], s0, v18, 0
	v_mul_u32_u24_e32 v7, 13, v7
	v_sub_u32_e32 v20, v0, v7
	v_add3_u32 v6, v6, v9, v8
	v_lshlrev_b64 v[5:6], 3, v[5:6]
	v_mov_b32_e32 v0, s9
	v_add_co_u32_e64 v5, s[0:1], s8, v5
	v_addc_co_u32_e64 v6, s[0:1], v0, v6, s[0:1]
	v_lshlrev_b64 v[0:1], 3, v[1:2]
	v_lshlrev_b32_e32 v2, 3, v20
	v_add_co_u32_e64 v0, s[0:1], v5, v0
	v_addc_co_u32_e64 v1, s[0:1], v6, v1, s[0:1]
	v_add_co_u32_e64 v5, s[0:1], v0, v2
	v_addc_co_u32_e64 v6, s[0:1], 0, v1, s[0:1]
	global_load_dwordx2 v[7:8], v[5:6], off
	global_load_dwordx2 v[9:10], v[5:6], off offset:104
	global_load_dwordx2 v[11:12], v[5:6], off offset:208
	;; [unrolled: 1-line block ×5, first 2 shown]
	v_add3_u32 v2, 0, v4, v2
	v_cmp_eq_u32_e64 s[0:1], 12, v20
	s_waitcnt vmcnt(4)
	ds_write2_b64 v2, v[7:8], v[9:10] offset1:13
	s_waitcnt vmcnt(2)
	ds_write2_b64 v2, v[11:12], v[13:14] offset0:26 offset1:39
	s_waitcnt vmcnt(0)
	ds_write2_b64 v2, v[21:22], v[23:24] offset0:52 offset1:65
	s_and_saveexec_b64 s[6:7], s[0:1]
	s_cbranch_execz .LBB0_13
; %bb.12:
	global_load_dwordx2 v[0:1], v[0:1], off offset:624
	v_mov_b32_e32 v20, 12
	s_waitcnt vmcnt(0)
	ds_write_b64 v2, v[0:1] offset:528
.LBB0_13:
	s_or_b64 exec, exec, s[6:7]
.LBB0_14:
	s_or_b64 exec, exec, s[4:5]
	v_lshl_add_u32 v31, v3, 3, 0
	v_lshlrev_b32_e32 v6, 3, v20
	v_add_u32_e32 v32, v31, v6
	s_waitcnt lgkmcnt(0)
	s_barrier
	v_sub_u32_e32 v5, v31, v6
	ds_read_b32 v1, v32
	ds_read_b32 v2, v5 offset:624
	v_cmp_ne_u32_e64 s[0:1], 0, v20
	s_waitcnt lgkmcnt(0)
	v_add_f32_e32 v0, v2, v1
	v_sub_f32_e32 v1, v1, v2
                                        ; implicit-def: $vgpr2_vgpr3
	s_and_saveexec_b64 s[4:5], s[0:1]
	s_xor_b64 s[4:5], exec, s[4:5]
	s_cbranch_execz .LBB0_16
; %bb.15:
	v_mov_b32_e32 v21, 0
	v_lshlrev_b64 v[2:3], 3, v[20:21]
	v_mov_b32_e32 v7, s13
	v_add_co_u32_e64 v2, s[0:1], s12, v2
	v_addc_co_u32_e64 v3, s[0:1], v7, v3, s[0:1]
	global_load_dwordx2 v[2:3], v[2:3], off offset:576
	ds_read_b32 v7, v5 offset:628
	ds_read_b32 v8, v32 offset:4
	s_waitcnt lgkmcnt(0)
	v_add_f32_e32 v11, v7, v8
	v_sub_f32_e32 v7, v8, v7
	s_waitcnt vmcnt(0)
	v_fma_f32 v12, v1, v3, v0
	v_fma_f32 v8, v11, v3, v7
	v_fma_f32 v9, -v1, v3, v0
	v_fma_f32 v10, v11, v3, -v7
	v_fma_f32 v7, -v2, v11, v12
	v_fmac_f32_e32 v8, v1, v2
	v_fmac_f32_e32 v9, v2, v11
	;; [unrolled: 1-line block ×3, first 2 shown]
	v_mov_b32_e32 v2, v20
	ds_write_b64 v32, v[7:8]
	ds_write_b64 v5, v[9:10] offset:624
	v_mov_b32_e32 v3, v21
                                        ; implicit-def: $vgpr0
.LBB0_16:
	s_andn2_saveexec_b64 s[0:1], s[4:5]
	s_cbranch_execz .LBB0_18
; %bb.17:
	ds_write_b64 v32, v[0:1]
	ds_read_b64 v[0:1], v31 offset:312
	v_mov_b32_e32 v2, 0
	v_mov_b32_e32 v3, 0
	s_waitcnt lgkmcnt(0)
	v_add_f32_e32 v0, v0, v0
	v_mul_f32_e32 v1, -2.0, v1
	ds_write_b64 v31, v[0:1] offset:312
.LBB0_18:
	s_or_b64 exec, exec, s[0:1]
	s_add_u32 s0, s12, 0x240
	v_lshlrev_b64 v[0:1], 3, v[2:3]
	s_addc_u32 s1, s13, 0
	v_mov_b32_e32 v2, s1
	v_add_co_u32_e64 v0, s[0:1], s0, v0
	v_addc_co_u32_e64 v1, s[0:1], v2, v1, s[0:1]
	global_load_dwordx2 v[2:3], v[0:1], off offset:104
	global_load_dwordx2 v[7:8], v[0:1], off offset:208
	ds_read_b64 v[0:1], v32 offset:104
	ds_read_b64 v[9:10], v5 offset:520
	v_add3_u32 v33, 0, v6, v4
	v_cmp_gt_u32_e64 s[0:1], 6, v20
	s_waitcnt lgkmcnt(0)
	v_add_f32_e32 v11, v0, v9
	v_add_f32_e32 v12, v10, v1
	v_sub_f32_e32 v13, v0, v9
	v_sub_f32_e32 v0, v1, v10
	s_waitcnt vmcnt(1)
	v_fma_f32 v14, v13, v3, v11
	v_fma_f32 v1, v12, v3, v0
	v_fma_f32 v9, -v13, v3, v11
	v_fma_f32 v10, v12, v3, -v0
	v_fma_f32 v0, -v2, v12, v14
	v_fmac_f32_e32 v1, v13, v2
	v_fmac_f32_e32 v9, v2, v12
	;; [unrolled: 1-line block ×3, first 2 shown]
	ds_write_b64 v32, v[0:1] offset:104
	ds_write_b64 v5, v[9:10] offset:520
	ds_read_b64 v[0:1], v32 offset:208
	ds_read_b64 v[2:3], v5 offset:416
	s_waitcnt lgkmcnt(0)
	v_add_f32_e32 v4, v0, v2
	v_add_f32_e32 v6, v3, v1
	v_sub_f32_e32 v9, v0, v2
	v_sub_f32_e32 v0, v1, v3
	s_waitcnt vmcnt(0)
	v_fma_f32 v10, v9, v8, v4
	v_fma_f32 v1, v6, v8, v0
	v_fma_f32 v2, -v9, v8, v4
	v_fma_f32 v3, v6, v8, -v0
	v_fma_f32 v0, -v7, v6, v10
	v_fmac_f32_e32 v1, v9, v7
	v_fmac_f32_e32 v2, v7, v6
	;; [unrolled: 1-line block ×3, first 2 shown]
	ds_write_b64 v32, v[0:1] offset:208
	ds_write_b64 v5, v[2:3] offset:416
	s_waitcnt lgkmcnt(0)
	s_barrier
	s_barrier
	ds_read2_b64 v[0:3], v33 offset0:13 offset1:26
	ds_read_b64 v[8:9], v32
	ds_read2_b64 v[4:7], v33 offset0:39 offset1:52
	ds_read_b64 v[10:11], v33 offset:520
	s_waitcnt lgkmcnt(0)
	s_barrier
	v_add_f32_e32 v21, v9, v3
	v_sub_f32_e32 v25, v3, v7
	v_add_f32_e32 v15, v5, v11
	v_add_f32_e32 v3, v3, v7
	;; [unrolled: 1-line block ×6, first 2 shown]
	v_sub_f32_e32 v4, v4, v10
	v_fma_f32 v1, -0.5, v15, v1
	v_add_f32_e32 v7, v21, v7
	v_fmac_f32_e32 v9, -0.5, v3
	v_add_f32_e32 v3, v22, v10
	v_add_f32_e32 v10, v23, v11
	;; [unrolled: 1-line block ×3, first 2 shown]
	v_sub_f32_e32 v2, v2, v6
	v_fma_f32 v0, -0.5, v14, v0
	v_add_f32_e32 v6, v12, v6
	v_add_f32_e32 v22, v7, v10
	v_sub_f32_e32 v24, v7, v10
	v_mov_b32_e32 v7, v1
	v_sub_f32_e32 v5, v5, v11
	v_fma_f32 v8, -0.5, v13, v8
	v_add_f32_e32 v21, v6, v3
	v_sub_f32_e32 v23, v6, v3
	v_mov_b32_e32 v3, v9
	v_mov_b32_e32 v6, v0
	v_fmac_f32_e32 v1, 0xbf5db3d7, v4
	v_fmac_f32_e32 v7, 0x3f5db3d7, v4
	v_mov_b32_e32 v11, v8
	v_fmac_f32_e32 v9, 0xbf5db3d7, v2
	v_fmac_f32_e32 v0, 0x3f5db3d7, v5
	v_fmac_f32_e32 v3, 0x3f5db3d7, v2
	v_fmac_f32_e32 v6, 0xbf5db3d7, v5
	v_mul_f32_e32 v2, 0xbf5db3d7, v1
	v_mul_f32_e32 v1, -0.5, v1
	v_mul_f32_e32 v4, 0xbf5db3d7, v7
	v_mul_f32_e32 v5, 0.5, v7
	v_fmac_f32_e32 v8, 0x3f5db3d7, v25
	v_fmac_f32_e32 v11, 0xbf5db3d7, v25
	v_fmac_f32_e32 v2, -0.5, v0
	v_fmac_f32_e32 v1, 0x3f5db3d7, v0
	v_fmac_f32_e32 v4, 0.5, v6
	v_fmac_f32_e32 v5, 0x3f5db3d7, v6
	v_add_f32_e32 v27, v8, v2
	v_add_f32_e32 v28, v9, v1
	v_sub_f32_e32 v0, v8, v2
	v_sub_f32_e32 v1, v9, v1
	v_add_f32_e32 v29, v11, v4
	v_add_f32_e32 v30, v3, v5
	v_sub_f32_e32 v25, v11, v4
	v_sub_f32_e32 v26, v3, v5
	v_mad_u32_u24 v2, v20, 40, v33
	ds_write2_b64 v2, v[21:22], v[29:30] offset1:1
	ds_write2_b64 v2, v[27:28], v[23:24] offset0:2 offset1:3
	ds_write2_b64 v2, v[25:26], v[0:1] offset0:4 offset1:5
	s_waitcnt lgkmcnt(0)
	s_barrier
	s_waitcnt lgkmcnt(0)
                                        ; implicit-def: $vgpr15
                                        ; implicit-def: $vgpr11
                                        ; implicit-def: $vgpr7
                                        ; implicit-def: $vgpr3
	s_and_saveexec_b64 s[4:5], s[0:1]
	s_cbranch_execz .LBB0_20
; %bb.19:
	ds_read2_b64 v[8:11], v33 offset0:18 offset1:24
	ds_read_b64 v[21:22], v32
	ds_read2_b64 v[34:37], v33 offset0:6 offset1:12
	ds_read2_b64 v[0:3], v33 offset0:30 offset1:36
	;; [unrolled: 1-line block ×3, first 2 shown]
	s_waitcnt lgkmcnt(4)
	v_mov_b32_e32 v26, v11
	v_mov_b32_e32 v25, v10
	v_mov_b32_e32 v24, v9
	v_mov_b32_e32 v23, v8
	ds_read2_b64 v[8:11], v33 offset0:54 offset1:60
	ds_read2_b64 v[12:15], v33 offset0:66 offset1:72
	s_waitcnt lgkmcnt(4)
	v_mov_b32_e32 v28, v37
	v_mov_b32_e32 v27, v36
	;; [unrolled: 1-line block ×4, first 2 shown]
.LBB0_20:
	s_or_b64 exec, exec, s[4:5]
	s_waitcnt lgkmcnt(0)
	s_barrier
	s_and_saveexec_b64 s[4:5], s[0:1]
	s_cbranch_execz .LBB0_22
; %bb.21:
	s_movk_i32 s0, 0xab
	v_mul_lo_u16_sdwa v34, v20, s0 dst_sel:DWORD dst_unused:UNUSED_PAD src0_sel:BYTE_0 src1_sel:DWORD
	v_lshrrev_b16_e32 v34, 10, v34
	v_mul_lo_u16_e32 v34, 6, v34
	v_sub_u16_e32 v34, v20, v34
	v_mul_lo_u16_e32 v34, 12, v34
	v_and_b32_e32 v34, 0xfc, v34
	v_lshlrev_b32_e32 v58, 3, v34
	global_load_dwordx4 v[34:37], v58, s[12:13] offset:80
	global_load_dwordx4 v[38:41], v58, s[12:13] offset:64
	;; [unrolled: 1-line block ×3, first 2 shown]
	global_load_dwordx4 v[46:49], v58, s[12:13]
	global_load_dwordx4 v[50:53], v58, s[12:13] offset:16
	global_load_dwordx4 v[54:57], v58, s[12:13] offset:32
	s_mov_b32 s0, 0xbf788fa5
	s_mov_b32 s1, 0x3f62ad3f
	;; [unrolled: 1-line block ×6, first 2 shown]
	s_waitcnt vmcnt(5)
	v_mul_f32_e32 v58, v14, v37
	v_mul_f32_e32 v37, v15, v37
	;; [unrolled: 1-line block ×3, first 2 shown]
	s_waitcnt vmcnt(2)
	v_mul_f32_e32 v64, v29, v47
	v_mul_f32_e32 v47, v30, v47
	;; [unrolled: 1-line block ×3, first 2 shown]
	s_waitcnt vmcnt(1)
	v_mul_f32_e32 v67, v25, v53
	v_mul_f32_e32 v53, v26, v53
	v_fma_f32 v58, v15, v36, -v58
	v_fma_f32 v30, v30, v46, -v64
	v_mul_f32_e32 v35, v13, v35
	v_mul_f32_e32 v60, v10, v41
	v_mul_f32_e32 v41, v11, v41
	v_mul_f32_e32 v61, v8, v39
	v_mul_f32_e32 v39, v9, v39
	v_mul_f32_e32 v62, v6, v45
	v_mul_f32_e32 v45, v7, v45
	v_mul_f32_e32 v63, v4, v43
	v_mul_f32_e32 v43, v5, v43
	v_mul_f32_e32 v49, v28, v49
	v_mul_f32_e32 v66, v23, v51
	s_waitcnt vmcnt(0)
	v_mul_f32_e32 v68, v2, v57
	v_mul_f32_e32 v57, v3, v57
	v_fmac_f32_e32 v37, v14, v36
	v_fma_f32 v36, v13, v34, -v59
	v_fma_f32 v28, v28, v48, -v65
	v_fmac_f32_e32 v53, v25, v52
	v_add_f32_e32 v25, v30, v58
	v_mul_f32_e32 v69, v0, v55
	v_mul_f32_e32 v55, v1, v55
	v_fmac_f32_e32 v35, v12, v34
	v_fma_f32 v34, v11, v40, -v60
	v_fmac_f32_e32 v41, v10, v40
	v_fma_f32 v40, v9, v38, -v61
	;; [unrolled: 2-line block ×4, first 2 shown]
	v_fmac_f32_e32 v43, v4, v42
	v_fmac_f32_e32 v47, v29, v46
	;; [unrolled: 1-line block ×3, first 2 shown]
	v_fma_f32 v27, v24, v50, -v66
	v_fma_f32 v29, v26, v52, -v67
	;; [unrolled: 1-line block ×3, first 2 shown]
	v_fmac_f32_e32 v57, v2, v56
	v_add_f32_e32 v26, v28, v36
	v_mul_f32_e32 v56, 0xbf788fa5, v25
	v_mul_f32_e32 v51, v24, v51
	v_fmac_f32_e32 v55, v0, v54
	v_sub_f32_e32 v6, v47, v37
	v_add_f32_e32 v48, v27, v34
	v_mul_f32_e32 v59, 0x3f62ad3f, v26
	v_mov_b32_e32 v0, v56
	v_fmac_f32_e32 v51, v23, v50
	v_fma_f32 v46, v1, v54, -v69
	v_sub_f32_e32 v2, v49, v35
	v_add_f32_e32 v50, v29, v40
	v_sub_f32_e32 v54, v30, v58
	v_mul_f32_e32 v60, 0xbf3f9e67, v48
	v_mov_b32_e32 v1, v59
	v_fmac_f32_e32 v0, 0x3e750f2a, v6
	v_sub_f32_e32 v3, v51, v41
	v_mul_f32_e32 v61, 0x3f116cb1, v50
	v_mul_f32_e32 v63, 0xbe750f2a, v54
	v_mov_b32_e32 v9, v60
	v_fmac_f32_e32 v1, 0xbeedf032, v2
	v_add_f32_e32 v0, v22, v0
	v_sub_f32_e32 v64, v28, v36
	v_sub_f32_e32 v4, v53, v39
	v_add_f32_e32 v8, v47, v37
	v_mov_b32_e32 v10, v61
	v_mov_b32_e32 v12, v63
	v_fmac_f32_e32 v9, 0x3f29c268, v3
	v_add_f32_e32 v0, v1, v0
	v_mul_f32_e32 v65, 0x3eedf032, v64
	v_sub_f32_e32 v66, v27, v34
	v_add_f32_e32 v7, v49, v35
	v_fmac_f32_e32 v10, 0xbf52af12, v4
	v_fmac_f32_e32 v12, 0xbf788fa5, v8
	v_add_f32_e32 v0, v9, v0
	v_mov_b32_e32 v1, v65
	v_mul_f32_e32 v67, 0xbf29c268, v66
	v_add_f32_e32 v12, v21, v12
	v_add_f32_e32 v0, v10, v0
	v_fmac_f32_e32 v1, 0x3f62ad3f, v7
	v_add_f32_e32 v9, v51, v41
	v_mov_b32_e32 v10, v67
	v_sub_f32_e32 v69, v29, v40
	v_add_f32_e32 v1, v1, v12
	v_fmac_f32_e32 v10, 0xbf3f9e67, v9
	v_mul_f32_e32 v70, 0x3f52af12, v69
	v_add_f32_e32 v1, v10, v1
	v_add_f32_e32 v68, v53, v39
	v_mov_b32_e32 v10, v70
	v_sub_f32_e32 v72, v46, v38
	v_add_f32_e32 v52, v46, v38
	v_fmac_f32_e32 v10, 0x3f116cb1, v68
	v_mul_f32_e32 v73, 0xbf6f5d39, v72
	v_mul_f32_e32 v62, 0xbeb58ec6, v52
	v_add_f32_e32 v1, v10, v1
	v_add_f32_e32 v71, v55, v45
	v_mov_b32_e32 v10, v73
	v_add_f32_e32 v74, v42, v44
	v_sub_f32_e32 v5, v55, v45
	v_mov_b32_e32 v11, v62
	v_fmac_f32_e32 v10, 0xbeb58ec6, v71
	v_mul_f32_e32 v75, 0x3df6dbef, v74
	v_fmac_f32_e32 v11, 0x3f6f5d39, v5
	v_add_f32_e32 v10, v10, v1
	v_sub_f32_e32 v76, v57, v43
	v_mov_b32_e32 v1, v75
	v_sub_f32_e32 v78, v42, v44
	v_add_f32_e32 v0, v11, v0
	v_fmac_f32_e32 v1, 0xbf7e222b, v76
	v_mul_f32_e32 v79, 0x3f7e222b, v78
	v_add_f32_e32 v1, v1, v0
	v_add_f32_e32 v77, v57, v43
	v_mov_b32_e32 v0, v79
	v_fmac_f32_e32 v0, 0x3df6dbef, v77
	v_mul_f32_e32 v80, 0xbf3f9e67, v25
	v_add_f32_e32 v0, v0, v10
	v_mov_b32_e32 v10, v80
	v_mul_f32_e32 v81, 0x3df6dbef, v26
	v_fmac_f32_e32 v10, 0x3f29c268, v6
	v_mov_b32_e32 v11, v81
	v_add_f32_e32 v10, v22, v10
	v_fmac_f32_e32 v11, 0xbf7e222b, v2
	v_mul_f32_e32 v82, 0x3f116cb1, v48
	v_add_f32_e32 v10, v11, v10
	v_mov_b32_e32 v11, v82
	v_fmac_f32_e32 v11, 0x3f52af12, v3
	v_mul_f32_e32 v83, 0xbf788fa5, v50
	v_add_f32_e32 v10, v11, v10
	v_mov_b32_e32 v11, v83
	v_fmac_f32_e32 v11, 0xbe750f2a, v4
	v_mul_f32_e32 v84, 0x3f62ad3f, v52
	v_add_f32_e32 v10, v11, v10
	v_mov_b32_e32 v11, v84
	v_fmac_f32_e32 v11, 0xbeedf032, v5
	v_mul_f32_e32 v85, 0xbf29c268, v54
	v_add_f32_e32 v10, v11, v10
	v_mov_b32_e32 v11, v85
	v_mul_f32_e32 v86, 0x3f7e222b, v64
	v_fmac_f32_e32 v11, 0xbf3f9e67, v8
	v_mov_b32_e32 v12, v86
	v_add_f32_e32 v11, v21, v11
	v_fmac_f32_e32 v12, 0x3df6dbef, v7
	v_mul_f32_e32 v87, 0xbf52af12, v66
	v_add_f32_e32 v11, v12, v11
	v_mov_b32_e32 v12, v87
	v_fmac_f32_e32 v12, 0x3f116cb1, v9
	v_mul_f32_e32 v88, 0x3e750f2a, v69
	v_add_f32_e32 v11, v12, v11
	v_mov_b32_e32 v12, v88
	v_fmac_f32_e32 v12, 0xbf788fa5, v68
	v_mul_f32_e32 v89, 0x3eedf032, v72
	v_add_f32_e32 v11, v12, v11
	v_mov_b32_e32 v12, v89
	v_fmac_f32_e32 v12, 0x3f62ad3f, v71
	v_mul_f32_e32 v90, 0xbeb58ec6, v74
	v_add_f32_e32 v12, v12, v11
	v_mov_b32_e32 v11, v90
	v_fmac_f32_e32 v11, 0x3f6f5d39, v76
	v_mul_f32_e32 v91, 0xbf6f5d39, v78
	v_add_f32_e32 v11, v11, v10
	v_mov_b32_e32 v10, v91
	v_fmac_f32_e32 v10, 0xbeb58ec6, v77
	v_mul_f32_e32 v92, 0xbeb58ec6, v25
	v_add_f32_e32 v10, v10, v12
	v_mov_b32_e32 v12, v92
	v_mul_f32_e32 v93, 0xbf3f9e67, v26
	v_fmac_f32_e32 v12, 0x3f6f5d39, v6
	v_mov_b32_e32 v13, v93
	v_add_f32_e32 v12, v22, v12
	v_fmac_f32_e32 v13, 0xbf29c268, v2
	v_mul_f32_e32 v94, 0x3f62ad3f, v48
	v_add_f32_e32 v12, v13, v12
	v_mov_b32_e32 v13, v94
	v_fmac_f32_e32 v13, 0xbeedf032, v3
	v_mul_f32_e32 v95, 0x3df6dbef, v50
	v_add_f32_e32 v12, v13, v12
	v_mov_b32_e32 v13, v95
	v_fmac_f32_e32 v13, 0x3f7e222b, v4
	v_mul_f32_e32 v96, 0xbf788fa5, v52
	v_add_f32_e32 v12, v13, v12
	v_mov_b32_e32 v13, v96
	v_fmac_f32_e32 v13, 0xbe750f2a, v5
	v_mul_f32_e32 v97, 0xbf6f5d39, v54
	v_add_f32_e32 v12, v13, v12
	v_mov_b32_e32 v13, v97
	v_mul_f32_e32 v98, 0x3f29c268, v64
	v_fmac_f32_e32 v13, 0xbeb58ec6, v8
	v_mov_b32_e32 v14, v98
	v_add_f32_e32 v13, v21, v13
	v_fmac_f32_e32 v14, 0xbf3f9e67, v7
	v_mul_f32_e32 v99, 0x3eedf032, v66
	v_add_f32_e32 v13, v14, v13
	v_mov_b32_e32 v14, v99
	v_fmac_f32_e32 v14, 0x3f62ad3f, v9
	v_mul_f32_e32 v100, 0xbf7e222b, v69
	v_add_f32_e32 v13, v14, v13
	v_mov_b32_e32 v14, v100
	v_fmac_f32_e32 v14, 0x3df6dbef, v68
	v_mul_f32_e32 v101, 0x3e750f2a, v72
	v_add_f32_e32 v13, v14, v13
	v_mov_b32_e32 v14, v101
	v_fmac_f32_e32 v14, 0xbf788fa5, v71
	v_mul_f32_e32 v102, 0x3f116cb1, v74
	v_add_f32_e32 v14, v14, v13
	v_mov_b32_e32 v13, v102
	v_fmac_f32_e32 v13, 0xbf52af12, v76
	v_mul_f32_e32 v103, 0x3f52af12, v78
	;; [unrolled: 48-line block ×3, first 2 shown]
	v_add_f32_e32 v15, v15, v14
	v_mov_b32_e32 v14, v115
	v_fmac_f32_e32 v14, 0xbf3f9e67, v77
	v_mul_f32_e32 v116, 0x3f116cb1, v25
	v_add_f32_e32 v14, v14, v23
	v_mov_b32_e32 v23, v116
	v_mul_f32_e32 v117, 0xbeb58ec6, v26
	v_fmac_f32_e32 v23, 0x3f52af12, v6
	v_mov_b32_e32 v24, v117
	v_add_f32_e32 v23, v22, v23
	v_fmac_f32_e32 v24, 0x3f6f5d39, v2
	v_mul_f32_e32 v118, 0xbf788fa5, v48
	v_add_f32_e32 v23, v24, v23
	v_mov_b32_e32 v24, v118
	v_fmac_f32_e32 v24, 0x3e750f2a, v3
	v_mul_f32_e32 v119, 0xbf3f9e67, v50
	v_add_f32_e32 v23, v24, v23
	v_mov_b32_e32 v24, v119
	v_add_f32_e32 v30, v22, v30
	v_fmac_f32_e32 v24, 0xbf29c268, v4
	v_mul_f32_e32 v120, 0x3df6dbef, v52
	v_add_f32_e32 v28, v30, v28
	v_add_f32_e32 v23, v24, v23
	v_mov_b32_e32 v24, v120
	v_add_f32_e32 v27, v28, v27
	v_add_f32_e32 v28, v21, v47
	v_fmac_f32_e32 v24, 0xbf7e222b, v5
	v_mul_f32_e32 v121, 0xbf52af12, v54
	v_add_f32_e32 v28, v28, v49
	v_add_f32_e32 v23, v24, v23
	v_mov_b32_e32 v24, v121
	v_mul_f32_e32 v122, 0xbf6f5d39, v64
	v_add_f32_e32 v28, v28, v51
	v_fmac_f32_e32 v24, 0x3f116cb1, v8
	v_mov_b32_e32 v123, v122
	v_add_f32_e32 v27, v27, v29
	v_add_f32_e32 v28, v28, v53
	;; [unrolled: 1-line block ×3, first 2 shown]
	v_fmac_f32_e32 v123, 0xbeb58ec6, v7
	v_add_f32_e32 v27, v27, v46
	v_add_f32_e32 v28, v28, v55
	v_add_f32_e32 v24, v123, v24
	v_mul_f32_e32 v123, 0xbe750f2a, v66
	v_add_f32_e32 v27, v27, v42
	v_add_f32_e32 v28, v28, v57
	v_mov_b32_e32 v124, v123
	v_add_f32_e32 v27, v27, v44
	v_add_f32_e32 v28, v28, v43
	v_fmac_f32_e32 v124, 0xbf788fa5, v9
	v_add_f32_e32 v27, v27, v38
	v_add_f32_e32 v28, v28, v45
	;; [unrolled: 1-line block ×3, first 2 shown]
	v_mul_f32_e32 v124, 0x3f29c268, v69
	v_add_f32_e32 v27, v27, v40
	v_add_f32_e32 v28, v28, v39
	v_mov_b32_e32 v125, v124
	v_add_f32_e32 v27, v27, v34
	v_add_f32_e32 v28, v28, v41
	v_fmac_f32_e32 v125, 0xbf3f9e67, v68
	v_add_f32_e32 v27, v27, v36
	v_add_f32_e32 v29, v28, v35
	v_fmac_f32_e32 v56, 0xbe750f2a, v6
	v_add_f32_e32 v24, v125, v24
	v_mul_f32_e32 v125, 0x3f7e222b, v72
	v_add_f32_e32 v28, v27, v58
	v_add_f32_e32 v27, v29, v37
	;; [unrolled: 1-line block ×3, first 2 shown]
	v_fmac_f32_e32 v59, 0x3eedf032, v2
	v_fma_f32 v30, v8, s0, -v63
	v_mov_b32_e32 v126, v125
	v_add_f32_e32 v29, v59, v29
	v_fmac_f32_e32 v60, 0xbf29c268, v3
	v_add_f32_e32 v30, v21, v30
	v_fma_f32 v34, v7, s1, -v65
	v_fmac_f32_e32 v126, 0x3df6dbef, v71
	v_mul_f32_e32 v127, 0x3f62ad3f, v74
	v_add_f32_e32 v29, v60, v29
	v_fmac_f32_e32 v61, 0x3f52af12, v4
	v_add_f32_e32 v30, v34, v30
	v_fma_f32 v34, v9, s6, -v67
	v_add_f32_e32 v126, v126, v24
	v_mov_b32_e32 v24, v127
	v_add_f32_e32 v29, v61, v29
	v_fmac_f32_e32 v62, 0xbf6f5d39, v5
	v_add_f32_e32 v30, v34, v30
	v_fma_f32 v34, v68, s7, -v70
	v_fmac_f32_e32 v24, 0xbeedf032, v76
	v_mul_f32_e32 v128, 0x3eedf032, v78
	v_add_f32_e32 v29, v62, v29
	v_add_f32_e32 v30, v34, v30
	v_fma_f32 v34, v71, s8, -v73
	v_fmac_f32_e32 v75, 0x3f7e222b, v76
	v_add_f32_e32 v24, v24, v23
	v_mov_b32_e32 v23, v128
	v_add_f32_e32 v34, v34, v30
	v_add_f32_e32 v30, v75, v29
	v_fma_f32 v29, v77, s9, -v79
	v_fmac_f32_e32 v80, 0xbf29c268, v6
	v_fmac_f32_e32 v23, 0x3f62ad3f, v77
	v_add_f32_e32 v29, v29, v34
	v_add_f32_e32 v34, v22, v80
	v_fmac_f32_e32 v81, 0x3f7e222b, v2
	v_fma_f32 v35, v8, s6, -v85
	v_add_f32_e32 v23, v23, v126
	v_mul_f32_e32 v126, 0x3f62ad3f, v25
	v_add_f32_e32 v34, v81, v34
	v_fmac_f32_e32 v82, 0xbf52af12, v3
	v_add_f32_e32 v35, v21, v35
	v_fma_f32 v36, v7, s9, -v86
	v_mov_b32_e32 v25, v126
	v_mul_f32_e32 v129, 0x3f116cb1, v26
	v_add_f32_e32 v34, v82, v34
	v_fmac_f32_e32 v83, 0x3e750f2a, v4
	v_add_f32_e32 v35, v36, v35
	v_fma_f32 v36, v9, s7, -v87
	v_fmac_f32_e32 v25, 0x3eedf032, v6
	v_mov_b32_e32 v26, v129
	v_add_f32_e32 v34, v83, v34
	v_fmac_f32_e32 v84, 0x3eedf032, v5
	v_add_f32_e32 v35, v36, v35
	v_fma_f32 v36, v68, s0, -v88
	v_add_f32_e32 v25, v22, v25
	v_fmac_f32_e32 v26, 0x3f52af12, v2
	v_mul_f32_e32 v48, 0x3df6dbef, v48
	v_add_f32_e32 v34, v84, v34
	v_add_f32_e32 v35, v36, v35
	v_fma_f32 v36, v71, s1, -v89
	v_fmac_f32_e32 v90, 0xbf6f5d39, v76
	v_add_f32_e32 v25, v26, v25
	v_mov_b32_e32 v26, v48
	v_add_f32_e32 v36, v36, v35
	v_add_f32_e32 v35, v90, v34
	v_fma_f32 v34, v77, s8, -v91
	v_fmac_f32_e32 v92, 0xbf6f5d39, v6
	v_fmac_f32_e32 v26, 0x3f7e222b, v3
	v_mul_f32_e32 v50, 0xbeb58ec6, v50
	v_add_f32_e32 v34, v34, v36
	v_add_f32_e32 v36, v22, v92
	v_fmac_f32_e32 v93, 0x3f29c268, v2
	v_fma_f32 v37, v8, s8, -v97
	v_add_f32_e32 v25, v26, v25
	v_mov_b32_e32 v26, v50
	v_add_f32_e32 v36, v93, v36
	v_fmac_f32_e32 v94, 0x3eedf032, v3
	v_add_f32_e32 v37, v21, v37
	v_fma_f32 v38, v7, s6, -v98
	v_fmac_f32_e32 v26, 0x3f6f5d39, v4
	v_mul_f32_e32 v52, 0xbf3f9e67, v52
	v_add_f32_e32 v36, v94, v36
	v_fmac_f32_e32 v95, 0xbf7e222b, v4
	v_add_f32_e32 v37, v38, v37
	v_fma_f32 v38, v9, s1, -v99
	v_add_f32_e32 v25, v26, v25
	v_mov_b32_e32 v26, v52
	v_add_f32_e32 v36, v95, v36
	v_fmac_f32_e32 v96, 0x3e750f2a, v5
	v_add_f32_e32 v37, v38, v37
	v_fma_f32 v38, v68, s9, -v100
	v_fmac_f32_e32 v26, 0x3f29c268, v5
	v_mul_f32_e32 v54, 0xbeedf032, v54
	v_add_f32_e32 v36, v96, v36
	v_add_f32_e32 v37, v38, v37
	v_fma_f32 v38, v71, s0, -v101
	v_fmac_f32_e32 v102, 0x3f52af12, v76
	v_add_f32_e32 v25, v26, v25
	v_mov_b32_e32 v26, v54
	v_mul_f32_e32 v64, 0xbf52af12, v64
	v_add_f32_e32 v38, v38, v37
	v_add_f32_e32 v37, v102, v36
	v_fma_f32 v36, v77, s7, -v103
	v_fmac_f32_e32 v104, 0xbf7e222b, v6
	v_fmac_f32_e32 v26, 0x3f62ad3f, v8
	v_mov_b32_e32 v130, v64
	v_add_f32_e32 v36, v36, v38
	v_add_f32_e32 v38, v22, v104
	v_fmac_f32_e32 v105, 0xbe750f2a, v2
	v_fma_f32 v39, v8, s9, -v109
	v_add_f32_e32 v26, v21, v26
	v_fmac_f32_e32 v130, 0x3f116cb1, v7
	v_mul_f32_e32 v66, 0xbf7e222b, v66
	v_add_f32_e32 v38, v105, v38
	v_fmac_f32_e32 v106, 0x3f6f5d39, v3
	v_add_f32_e32 v39, v21, v39
	v_fma_f32 v40, v7, s0, -v110
	v_add_f32_e32 v26, v130, v26
	v_mov_b32_e32 v130, v66
	v_add_f32_e32 v38, v106, v38
	v_fmac_f32_e32 v107, 0x3eedf032, v4
	v_add_f32_e32 v39, v40, v39
	v_fma_f32 v40, v9, s8, -v111
	v_fmac_f32_e32 v130, 0x3df6dbef, v9
	v_mul_f32_e32 v69, 0xbf6f5d39, v69
	v_add_f32_e32 v38, v107, v38
	v_fmac_f32_e32 v108, 0xbf52af12, v5
	v_add_f32_e32 v39, v40, v39
	v_fma_f32 v40, v68, s1, -v112
	v_add_f32_e32 v26, v130, v26
	v_mov_b32_e32 v130, v69
	v_add_f32_e32 v38, v108, v38
	v_add_f32_e32 v39, v40, v39
	v_fma_f32 v40, v71, s7, -v113
	v_fmac_f32_e32 v114, 0xbf29c268, v76
	v_fmac_f32_e32 v130, 0xbeb58ec6, v68
	v_mul_f32_e32 v72, 0xbf29c268, v72
	v_add_f32_e32 v40, v40, v39
	v_add_f32_e32 v39, v114, v38
	v_fma_f32 v38, v77, s6, -v115
	v_fmac_f32_e32 v116, 0xbf52af12, v6
	v_add_f32_e32 v26, v130, v26
	v_mov_b32_e32 v130, v72
	v_add_f32_e32 v38, v38, v40
	v_add_f32_e32 v40, v22, v116
	v_fmac_f32_e32 v117, 0xbf6f5d39, v2
	v_fma_f32 v41, v8, s7, -v121
	v_fmac_f32_e32 v126, 0xbeedf032, v6
	v_fma_f32 v6, v8, s1, -v54
	v_fmac_f32_e32 v130, 0xbf3f9e67, v71
	v_mul_f32_e32 v74, 0xbf788fa5, v74
	v_add_f32_e32 v40, v117, v40
	v_fmac_f32_e32 v118, 0xbe750f2a, v3
	v_add_f32_e32 v41, v21, v41
	v_fma_f32 v42, v7, s8, -v122
	v_add_f32_e32 v8, v22, v126
	v_add_f32_e32 v6, v21, v6
	v_fmac_f32_e32 v129, 0xbf52af12, v2
	v_fmac_f32_e32 v48, 0xbf7e222b, v3
	v_fma_f32 v3, v7, s7, -v64
	v_add_f32_e32 v130, v130, v26
	v_mov_b32_e32 v26, v74
	v_add_f32_e32 v40, v118, v40
	v_fmac_f32_e32 v119, 0x3f29c268, v4
	v_add_f32_e32 v41, v42, v41
	v_fma_f32 v42, v9, s0, -v123
	v_add_f32_e32 v2, v129, v8
	v_fmac_f32_e32 v50, 0xbf6f5d39, v4
	v_add_f32_e32 v3, v3, v6
	v_fma_f32 v4, v9, s9, -v66
	v_fmac_f32_e32 v26, 0x3e750f2a, v76
	v_mul_f32_e32 v78, 0xbe750f2a, v78
	v_add_f32_e32 v40, v119, v40
	v_fmac_f32_e32 v120, 0x3f7e222b, v5
	v_add_f32_e32 v41, v42, v41
	v_fma_f32 v42, v68, s6, -v124
	v_add_f32_e32 v2, v48, v2
	v_add_f32_e32 v3, v4, v3
	v_fma_f32 v4, v68, s8, -v69
	v_add_f32_e32 v26, v26, v25
	v_mov_b32_e32 v25, v78
	v_add_f32_e32 v40, v120, v40
	v_add_f32_e32 v41, v42, v41
	v_fma_f32 v42, v71, s9, -v125
	v_fmac_f32_e32 v127, 0x3eedf032, v76
	v_add_f32_e32 v2, v50, v2
	v_fmac_f32_e32 v52, 0xbf29c268, v5
	v_add_f32_e32 v3, v4, v3
	v_fma_f32 v4, v71, s6, -v72
	v_fmac_f32_e32 v25, 0xbf788fa5, v77
	v_add_f32_e32 v42, v42, v41
	v_add_f32_e32 v41, v127, v40
	v_fma_f32 v40, v77, s1, -v128
	v_add_f32_e32 v2, v52, v2
	v_fmac_f32_e32 v74, 0xbe750f2a, v76
	v_add_f32_e32 v4, v4, v3
	v_fma_f32 v5, v77, s0, -v78
	v_add_f32_e32 v25, v25, v130
	v_add_f32_e32 v40, v40, v42
	;; [unrolled: 1-line block ×4, first 2 shown]
	ds_write_b64 v32, v[27:28]
	ds_write2_b64 v33, v[25:26], v[23:24] offset0:6 offset1:12
	ds_write2_b64 v33, v[14:15], v[12:13] offset0:18 offset1:24
	ds_write2_b64 v33, v[10:11], v[0:1] offset0:30 offset1:36
	ds_write2_b64 v33, v[29:30], v[34:35] offset0:42 offset1:48
	ds_write2_b64 v33, v[36:37], v[38:39] offset0:54 offset1:60
	ds_write2_b64 v33, v[40:41], v[2:3] offset0:66 offset1:72
.LBB0_22:
	s_or_b64 exec, exec, s[4:5]
	s_waitcnt lgkmcnt(0)
	s_barrier
	s_and_saveexec_b64 s[0:1], vcc
	s_cbranch_execz .LBB0_24
; %bb.23:
	v_mul_lo_u32 v0, s3, v18
	v_mul_lo_u32 v1, s2, v19
	v_mad_u64_u32 v[4:5], s[0:1], s2, v18, 0
	v_mov_b32_e32 v7, s11
	v_lshl_add_u32 v6, v20, 3, v31
	v_add3_u32 v5, v5, v1, v0
	v_lshlrev_b64 v[4:5], 3, v[4:5]
	v_mov_b32_e32 v21, 0
	v_add_co_u32_e32 v8, vcc, s10, v4
	v_addc_co_u32_e32 v7, vcc, v7, v5, vcc
	v_lshlrev_b64 v[4:5], 3, v[16:17]
	ds_read2_b64 v[0:3], v6 offset1:13
	v_add_co_u32_e32 v8, vcc, v8, v4
	v_addc_co_u32_e32 v7, vcc, v7, v5, vcc
	v_lshlrev_b64 v[4:5], 3, v[20:21]
	v_add_co_u32_e32 v4, vcc, v8, v4
	v_addc_co_u32_e32 v5, vcc, v7, v5, vcc
	s_waitcnt lgkmcnt(0)
	global_store_dwordx2 v[4:5], v[0:1], off
	v_add_u32_e32 v0, 13, v20
	v_mov_b32_e32 v1, v21
	v_lshlrev_b64 v[0:1], 3, v[0:1]
	v_add_u32_e32 v4, 26, v20
	v_add_co_u32_e32 v0, vcc, v8, v0
	v_addc_co_u32_e32 v1, vcc, v7, v1, vcc
	global_store_dwordx2 v[0:1], v[2:3], off
	v_mov_b32_e32 v5, v21
	ds_read2_b64 v[0:3], v6 offset0:26 offset1:39
	v_lshlrev_b64 v[4:5], 3, v[4:5]
	v_add_co_u32_e32 v4, vcc, v8, v4
	v_addc_co_u32_e32 v5, vcc, v7, v5, vcc
	s_waitcnt lgkmcnt(0)
	global_store_dwordx2 v[4:5], v[0:1], off
	v_add_u32_e32 v0, 39, v20
	v_mov_b32_e32 v1, v21
	v_lshlrev_b64 v[0:1], 3, v[0:1]
	v_add_u32_e32 v4, 52, v20
	v_add_co_u32_e32 v0, vcc, v8, v0
	v_addc_co_u32_e32 v1, vcc, v7, v1, vcc
	global_store_dwordx2 v[0:1], v[2:3], off
	v_mov_b32_e32 v5, v21
	ds_read2_b64 v[0:3], v6 offset0:52 offset1:65
	v_lshlrev_b64 v[4:5], 3, v[4:5]
	v_add_u32_e32 v20, 0x41, v20
	v_add_co_u32_e32 v4, vcc, v8, v4
	v_addc_co_u32_e32 v5, vcc, v7, v5, vcc
	s_waitcnt lgkmcnt(0)
	global_store_dwordx2 v[4:5], v[0:1], off
	v_lshlrev_b64 v[0:1], 3, v[20:21]
	v_add_co_u32_e32 v0, vcc, v8, v0
	v_addc_co_u32_e32 v1, vcc, v7, v1, vcc
	global_store_dwordx2 v[0:1], v[2:3], off
.LBB0_24:
	s_endpgm
	.section	.rodata,"a",@progbits
	.p2align	6, 0x0
	.amdhsa_kernel fft_rtc_back_len78_factors_6_13_wgs_247_tpt_13_sp_op_CI_CI_unitstride_sbrr_C2R_dirReg
		.amdhsa_group_segment_fixed_size 0
		.amdhsa_private_segment_fixed_size 0
		.amdhsa_kernarg_size 104
		.amdhsa_user_sgpr_count 6
		.amdhsa_user_sgpr_private_segment_buffer 1
		.amdhsa_user_sgpr_dispatch_ptr 0
		.amdhsa_user_sgpr_queue_ptr 0
		.amdhsa_user_sgpr_kernarg_segment_ptr 1
		.amdhsa_user_sgpr_dispatch_id 0
		.amdhsa_user_sgpr_flat_scratch_init 0
		.amdhsa_user_sgpr_private_segment_size 0
		.amdhsa_uses_dynamic_stack 0
		.amdhsa_system_sgpr_private_segment_wavefront_offset 0
		.amdhsa_system_sgpr_workgroup_id_x 1
		.amdhsa_system_sgpr_workgroup_id_y 0
		.amdhsa_system_sgpr_workgroup_id_z 0
		.amdhsa_system_sgpr_workgroup_info 0
		.amdhsa_system_vgpr_workitem_id 0
		.amdhsa_next_free_vgpr 131
		.amdhsa_next_free_sgpr 28
		.amdhsa_reserve_vcc 1
		.amdhsa_reserve_flat_scratch 0
		.amdhsa_float_round_mode_32 0
		.amdhsa_float_round_mode_16_64 0
		.amdhsa_float_denorm_mode_32 3
		.amdhsa_float_denorm_mode_16_64 3
		.amdhsa_dx10_clamp 1
		.amdhsa_ieee_mode 1
		.amdhsa_fp16_overflow 0
		.amdhsa_exception_fp_ieee_invalid_op 0
		.amdhsa_exception_fp_denorm_src 0
		.amdhsa_exception_fp_ieee_div_zero 0
		.amdhsa_exception_fp_ieee_overflow 0
		.amdhsa_exception_fp_ieee_underflow 0
		.amdhsa_exception_fp_ieee_inexact 0
		.amdhsa_exception_int_div_zero 0
	.end_amdhsa_kernel
	.text
.Lfunc_end0:
	.size	fft_rtc_back_len78_factors_6_13_wgs_247_tpt_13_sp_op_CI_CI_unitstride_sbrr_C2R_dirReg, .Lfunc_end0-fft_rtc_back_len78_factors_6_13_wgs_247_tpt_13_sp_op_CI_CI_unitstride_sbrr_C2R_dirReg
                                        ; -- End function
	.section	.AMDGPU.csdata,"",@progbits
; Kernel info:
; codeLenInByte = 6140
; NumSgprs: 32
; NumVgprs: 131
; ScratchSize: 0
; MemoryBound: 0
; FloatMode: 240
; IeeeMode: 1
; LDSByteSize: 0 bytes/workgroup (compile time only)
; SGPRBlocks: 3
; VGPRBlocks: 32
; NumSGPRsForWavesPerEU: 32
; NumVGPRsForWavesPerEU: 131
; Occupancy: 1
; WaveLimiterHint : 1
; COMPUTE_PGM_RSRC2:SCRATCH_EN: 0
; COMPUTE_PGM_RSRC2:USER_SGPR: 6
; COMPUTE_PGM_RSRC2:TRAP_HANDLER: 0
; COMPUTE_PGM_RSRC2:TGID_X_EN: 1
; COMPUTE_PGM_RSRC2:TGID_Y_EN: 0
; COMPUTE_PGM_RSRC2:TGID_Z_EN: 0
; COMPUTE_PGM_RSRC2:TIDIG_COMP_CNT: 0
	.type	__hip_cuid_2fb18b78d530dfb0,@object ; @__hip_cuid_2fb18b78d530dfb0
	.section	.bss,"aw",@nobits
	.globl	__hip_cuid_2fb18b78d530dfb0
__hip_cuid_2fb18b78d530dfb0:
	.byte	0                               ; 0x0
	.size	__hip_cuid_2fb18b78d530dfb0, 1

	.ident	"AMD clang version 19.0.0git (https://github.com/RadeonOpenCompute/llvm-project roc-6.4.0 25133 c7fe45cf4b819c5991fe208aaa96edf142730f1d)"
	.section	".note.GNU-stack","",@progbits
	.addrsig
	.addrsig_sym __hip_cuid_2fb18b78d530dfb0
	.amdgpu_metadata
---
amdhsa.kernels:
  - .args:
      - .actual_access:  read_only
        .address_space:  global
        .offset:         0
        .size:           8
        .value_kind:     global_buffer
      - .offset:         8
        .size:           8
        .value_kind:     by_value
      - .actual_access:  read_only
        .address_space:  global
        .offset:         16
        .size:           8
        .value_kind:     global_buffer
      - .actual_access:  read_only
        .address_space:  global
        .offset:         24
        .size:           8
        .value_kind:     global_buffer
      - .actual_access:  read_only
        .address_space:  global
        .offset:         32
        .size:           8
        .value_kind:     global_buffer
      - .offset:         40
        .size:           8
        .value_kind:     by_value
      - .actual_access:  read_only
        .address_space:  global
        .offset:         48
        .size:           8
        .value_kind:     global_buffer
      - .actual_access:  read_only
        .address_space:  global
        .offset:         56
        .size:           8
        .value_kind:     global_buffer
      - .offset:         64
        .size:           4
        .value_kind:     by_value
      - .actual_access:  read_only
        .address_space:  global
        .offset:         72
        .size:           8
        .value_kind:     global_buffer
      - .actual_access:  read_only
        .address_space:  global
        .offset:         80
        .size:           8
        .value_kind:     global_buffer
      - .actual_access:  read_only
        .address_space:  global
        .offset:         88
        .size:           8
        .value_kind:     global_buffer
      - .actual_access:  write_only
        .address_space:  global
        .offset:         96
        .size:           8
        .value_kind:     global_buffer
    .group_segment_fixed_size: 0
    .kernarg_segment_align: 8
    .kernarg_segment_size: 104
    .language:       OpenCL C
    .language_version:
      - 2
      - 0
    .max_flat_workgroup_size: 247
    .name:           fft_rtc_back_len78_factors_6_13_wgs_247_tpt_13_sp_op_CI_CI_unitstride_sbrr_C2R_dirReg
    .private_segment_fixed_size: 0
    .sgpr_count:     32
    .sgpr_spill_count: 0
    .symbol:         fft_rtc_back_len78_factors_6_13_wgs_247_tpt_13_sp_op_CI_CI_unitstride_sbrr_C2R_dirReg.kd
    .uniform_work_group_size: 1
    .uses_dynamic_stack: false
    .vgpr_count:     131
    .vgpr_spill_count: 0
    .wavefront_size: 64
amdhsa.target:   amdgcn-amd-amdhsa--gfx906
amdhsa.version:
  - 1
  - 2
...

	.end_amdgpu_metadata
